;; amdgpu-corpus repo=ROCm/rocFFT kind=compiled arch=gfx906 opt=O3
	.text
	.amdgcn_target "amdgcn-amd-amdhsa--gfx906"
	.amdhsa_code_object_version 6
	.protected	fft_rtc_fwd_len256_factors_2_4_4_8_wgs_128_tpt_32_dim3_sp_ip_CI_unitstride_sbrr_dirReg ; -- Begin function fft_rtc_fwd_len256_factors_2_4_4_8_wgs_128_tpt_32_dim3_sp_ip_CI_unitstride_sbrr_dirReg
	.globl	fft_rtc_fwd_len256_factors_2_4_4_8_wgs_128_tpt_32_dim3_sp_ip_CI_unitstride_sbrr_dirReg
	.p2align	8
	.type	fft_rtc_fwd_len256_factors_2_4_4_8_wgs_128_tpt_32_dim3_sp_ip_CI_unitstride_sbrr_dirReg,@function
fft_rtc_fwd_len256_factors_2_4_4_8_wgs_128_tpt_32_dim3_sp_ip_CI_unitstride_sbrr_dirReg: ; @fft_rtc_fwd_len256_factors_2_4_4_8_wgs_128_tpt_32_dim3_sp_ip_CI_unitstride_sbrr_dirReg
; %bb.0:
	s_load_dwordx4 s[0:3], s[4:5], 0x8
	v_lshrrev_b32_e32 v22, 5, v0
	v_mov_b32_e32 v1, 0
	v_lshl_or_b32 v3, s6, 2, v22
	v_mov_b32_e32 v4, 0
	s_waitcnt lgkmcnt(0)
	s_load_dwordx2 s[8:9], s[0:1], 0x8
	v_mov_b32_e32 v2, 0
	v_mov_b32_e32 v6, v2
	v_mov_b32_e32 v5, v1
	s_waitcnt lgkmcnt(0)
	v_cmp_le_u64_e32 vcc, s[8:9], v[3:4]
	s_and_saveexec_b64 s[6:7], vcc
	s_cbranch_execz .LBB0_2
; %bb.1:
	v_cvt_f32_u32_e32 v5, s8
	s_sub_i32 s10, 0, s8
	v_rcp_iflag_f32_e32 v5, v5
	v_mul_f32_e32 v5, 0x4f7ffffe, v5
	v_cvt_u32_f32_e32 v5, v5
	v_mul_lo_u32 v6, s10, v5
	v_mul_hi_u32 v6, v5, v6
	v_add_u32_e32 v5, v5, v6
	v_mul_hi_u32 v5, v3, v5
	v_mul_lo_u32 v6, v5, s8
	v_add_u32_e32 v7, 1, v5
	v_sub_u32_e32 v6, v3, v6
	v_subrev_u32_e32 v8, s8, v6
	v_cmp_le_u32_e32 vcc, s8, v6
	v_cndmask_b32_e32 v6, v6, v8, vcc
	v_cndmask_b32_e32 v5, v5, v7, vcc
	v_add_u32_e32 v7, 1, v5
	v_cmp_le_u32_e32 vcc, s8, v6
	v_cndmask_b32_e32 v5, v5, v7, vcc
	v_mov_b32_e32 v6, v4
.LBB0_2:
	s_or_b64 exec, exec, s[6:7]
	s_load_dwordx2 s[6:7], s[0:1], 0x10
	s_load_dwordx2 s[10:11], s[2:3], 0x8
	s_waitcnt lgkmcnt(0)
	v_cmp_le_u64_e32 vcc, s[6:7], v[5:6]
	s_and_saveexec_b64 s[0:1], vcc
	s_cbranch_execz .LBB0_4
; %bb.3:
	v_cvt_f32_u32_e32 v1, s6
	s_sub_i32 s12, 0, s6
	v_rcp_iflag_f32_e32 v1, v1
	v_mul_f32_e32 v1, 0x4f7ffffe, v1
	v_cvt_u32_f32_e32 v1, v1
	v_mul_lo_u32 v2, s12, v1
	v_mul_hi_u32 v2, v1, v2
	v_add_u32_e32 v1, v1, v2
	v_mul_hi_u32 v1, v5, v1
	v_mul_lo_u32 v2, v1, s6
	v_add_u32_e32 v4, 1, v1
	v_sub_u32_e32 v2, v5, v2
	v_subrev_u32_e32 v7, s6, v2
	v_cmp_le_u32_e32 vcc, s6, v2
	v_cndmask_b32_e32 v2, v2, v7, vcc
	v_cndmask_b32_e32 v1, v1, v4, vcc
	v_add_u32_e32 v4, 1, v1
	v_cmp_le_u32_e32 vcc, s6, v2
	v_cndmask_b32_e32 v1, v1, v4, vcc
	v_mov_b32_e32 v2, 0
.LBB0_4:
	s_or_b64 exec, exec, s[0:1]
	v_mad_u64_u32 v[7:8], s[0:1], v5, s8, 0
	v_and_b32_e32 v20, 31, v0
	v_or_b32_e32 v21, 32, v20
	v_mov_b32_e32 v4, v8
	v_mad_u64_u32 v[8:9], s[0:1], v5, s9, v[4:5]
	v_sub_co_u32_e32 v7, vcc, v3, v7
	v_mov_b32_e32 v4, v8
	v_subb_co_u32_e32 v8, vcc, 0, v4, vcc
	v_mad_u64_u32 v[3:4], s[0:1], v1, s6, 0
	v_mul_lo_u32 v11, s11, v7
	v_mul_lo_u32 v12, s10, v8
	v_mad_u64_u32 v[9:10], s[0:1], v1, s7, v[4:5]
	v_mad_u64_u32 v[7:8], s[0:1], s10, v7, 0
	s_load_dwordx4 s[8:11], s[2:3], 0x10
	v_mov_b32_e32 v4, v9
	v_sub_co_u32_e32 v5, vcc, v5, v3
	v_add3_u32 v8, v8, v12, v11
	v_subb_co_u32_e32 v6, vcc, v6, v4, vcc
	s_waitcnt lgkmcnt(0)
	v_mad_u64_u32 v[3:4], s[0:1], s8, v5, v[7:8]
	v_mul_lo_u32 v6, s8, v6
	v_mul_lo_u32 v5, s9, v5
	v_or_b32_e32 v24, 64, v20
                                        ; implicit-def: $sgpr8_sgpr9
                                        ; implicit-def: $vgpr25
	v_add3_u32 v4, v5, v4, v6
	v_mad_u64_u32 v[6:7], s[0:1], s10, v1, v[3:4]
	s_load_dwordx2 s[2:3], s[4:5], 0x48
	s_load_dwordx2 s[0:1], s[4:5], 0x18
	;; [unrolled: 1-line block ×3, first 2 shown]
                                        ; implicit-def: $sgpr10
	v_mov_b32_e32 v3, v7
	v_mad_u64_u32 v[3:4], s[4:5], s11, v1, v[3:4]
	s_waitcnt lgkmcnt(0)
	v_cmp_gt_u64_e32 vcc, s[0:1], v[1:2]
	v_cmp_le_u64_e64 s[0:1], s[0:1], v[1:2]
	s_and_saveexec_b64 s[4:5], s[0:1]
	s_xor_b64 s[0:1], exec, s[4:5]
; %bb.5:
	v_or_b32_e32 v21, 32, v20
	v_or_b32_e32 v24, 64, v20
	v_or_b32_e32 v25, 0x60, v20
	s_mov_b32 s10, 0
	s_mov_b64 s[8:9], 0
; %bb.6:
	s_or_saveexec_b64 s[4:5], s[0:1]
	v_mov_b32_e32 v7, v3
	v_mov_b32_e32 v4, s8
	v_lshlrev_b64 v[1:2], 3, v[6:7]
	v_mov_b32_e32 v6, s8
	v_mov_b32_e32 v8, s8
	;; [unrolled: 1-line block ×5, first 2 shown]
	v_lshlrev_b32_e32 v23, 3, v20
	v_mov_b32_e32 v7, s9
	v_mov_b32_e32 v9, s9
	v_mov_b32_e32 v16, s8
                                        ; implicit-def: $vgpr19
                                        ; implicit-def: $vgpr15
                                        ; implicit-def: $vgpr13
                                        ; implicit-def: $vgpr11
	s_xor_b64 exec, exec, s[4:5]
	s_cbranch_execz .LBB0_8
; %bb.7:
	v_mov_b32_e32 v3, s3
	v_add_co_u32_e64 v4, s[0:1], s2, v1
	v_addc_co_u32_e64 v3, s[0:1], v3, v2, s[0:1]
	v_add_co_u32_e64 v25, s[0:1], v4, v23
	v_addc_co_u32_e64 v26, s[0:1], 0, v3, s[0:1]
	global_load_dwordx2 v[4:5], v[25:26], off
	global_load_dwordx2 v[6:7], v[25:26], off offset:256
	global_load_dwordx2 v[8:9], v[25:26], off offset:512
	global_load_dwordx2 v[16:17], v[25:26], off offset:768
	global_load_dwordx2 v[18:19], v[25:26], off offset:1024
	global_load_dwordx2 v[14:15], v[25:26], off offset:1280
	global_load_dwordx2 v[12:13], v[25:26], off offset:1536
	global_load_dwordx2 v[10:11], v[25:26], off offset:1792
	v_or_b32_e32 v25, 0x60, v20
	v_mov_b32_e32 v3, v20
.LBB0_8:
	s_or_b64 exec, exec, s[4:5]
	s_waitcnt vmcnt(3)
	v_sub_f32_e32 v18, v4, v18
	v_sub_f32_e32 v19, v5, v19
	v_lshl_add_u32 v28, v22, 11, 0
	v_fma_f32 v4, v4, 2.0, -v18
	v_fma_f32 v5, v5, 2.0, -v19
	s_waitcnt vmcnt(2)
	v_sub_f32_e32 v14, v6, v14
	v_sub_f32_e32 v15, v7, v15
	v_lshl_add_u32 v22, v20, 4, v28
	v_and_b32_e32 v29, 1, v0
	v_fma_f32 v6, v6, 2.0, -v14
	v_fma_f32 v7, v7, 2.0, -v15
	s_waitcnt vmcnt(1)
	v_sub_f32_e32 v12, v8, v12
	v_sub_f32_e32 v13, v9, v13
	s_waitcnt vmcnt(0)
	v_sub_f32_e32 v10, v16, v10
	v_sub_f32_e32 v11, v17, v11
	ds_write2_b64 v22, v[4:5], v[18:19] offset1:1
	v_lshl_add_u32 v18, v21, 4, v28
	v_mul_u32_u24_e32 v4, 3, v29
	v_fma_f32 v8, v8, 2.0, -v12
	v_fma_f32 v9, v9, 2.0, -v13
	;; [unrolled: 1-line block ×4, first 2 shown]
	ds_write2_b64 v18, v[6:7], v[14:15] offset1:1
	v_lshl_add_u32 v5, v24, 4, v28
	v_lshl_add_u32 v6, v25, 4, v28
	v_lshlrev_b32_e32 v4, 3, v4
	ds_write2_b64 v5, v[8:9], v[12:13] offset1:1
	ds_write2_b64 v6, v[16:17], v[10:11] offset1:1
	s_waitcnt lgkmcnt(0)
	s_barrier
	global_load_dwordx4 v[8:11], v4, s[6:7]
	global_load_dwordx2 v[16:17], v4, s[6:7] offset:16
	v_sub_u32_e32 v4, v22, v23
	ds_read2_b64 v[12:15], v4 offset0:128 offset1:160
	v_lshlrev_b32_e32 v7, 3, v24
	v_lshlrev_b32_e32 v19, 3, v21
	v_lshlrev_b32_e32 v22, 3, v25
	v_sub_u32_e32 v5, v5, v7
	v_sub_u32_e32 v7, v18, v19
	;; [unrolled: 1-line block ×3, first 2 shown]
	s_movk_i32 s0, 0x78
	v_and_b32_e32 v0, 7, v0
	s_waitcnt vmcnt(1) lgkmcnt(0)
	v_mul_f32_e32 v18, v11, v13
	v_mul_f32_e32 v22, v11, v12
	;; [unrolled: 1-line block ×4, first 2 shown]
	v_fma_f32 v25, v10, v12, -v18
	ds_read_b64 v[11:12], v5
	v_fmac_f32_e32 v22, v10, v13
	v_fma_f32 v26, v10, v14, -v19
	ds_read_b64 v[13:14], v7
	ds_read_b64 v[18:19], v6
	v_fmac_f32_e32 v24, v10, v15
	s_waitcnt lgkmcnt(2)
	v_mul_f32_e32 v10, v9, v12
	v_mul_f32_e32 v15, v9, v11
	v_fma_f32 v27, v8, v11, -v10
	s_waitcnt lgkmcnt(0)
	v_mul_f32_e32 v10, v9, v19
	v_mul_f32_e32 v30, v9, v18
	v_fmac_f32_e32 v15, v8, v12
	v_fma_f32 v31, v8, v18, -v10
	v_fmac_f32_e32 v30, v8, v19
	ds_read2_b64 v[8:11], v4 offset0:192 offset1:224
	v_sub_f32_e32 v33, v14, v24
	v_sub_f32_e32 v26, v13, v26
	s_waitcnt vmcnt(0) lgkmcnt(0)
	v_mul_f32_e32 v12, v17, v9
	v_mul_f32_e32 v18, v17, v8
	v_fma_f32 v12, v16, v8, -v12
	v_mul_f32_e32 v8, v17, v11
	v_fma_f32 v19, v16, v10, -v8
	v_add_u32_e32 v8, v28, v23
	v_fmac_f32_e32 v18, v16, v9
	v_mul_f32_e32 v32, v17, v10
	ds_read_b64 v[9:10], v8
	v_fmac_f32_e32 v32, v16, v11
	v_sub_f32_e32 v11, v27, v12
	v_sub_f32_e32 v12, v15, v18
	v_fma_f32 v23, v27, 2.0, -v11
	s_waitcnt lgkmcnt(0)
	v_sub_f32_e32 v16, v9, v25
	v_sub_f32_e32 v17, v10, v22
	v_fma_f32 v18, v9, 2.0, -v16
	v_fma_f32 v22, v10, 2.0, -v17
	;; [unrolled: 1-line block ×3, first 2 shown]
	v_sub_f32_e32 v24, v30, v32
	v_sub_f32_e32 v9, v16, v12
	v_add_f32_e32 v10, v17, v11
	v_sub_f32_e32 v11, v18, v23
	v_sub_f32_e32 v12, v22, v15
	v_fma_f32 v23, v14, 2.0, -v33
	v_sub_f32_e32 v19, v31, v19
	v_fma_f32 v14, v30, 2.0, -v24
	v_lshlrev_b32_e32 v30, 2, v20
	v_fma_f32 v15, v16, 2.0, -v9
	v_fma_f32 v16, v17, 2.0, -v10
	;; [unrolled: 1-line block ×6, first 2 shown]
	v_add_f32_e32 v25, v33, v19
	v_and_or_b32 v19, v30, s0, v29
	v_lshl_add_u32 v19, v19, 3, v28
	v_lshlrev_b32_e32 v31, 2, v21
	s_movk_i32 s0, 0xf8
	v_sub_f32_e32 v13, v22, v13
	v_sub_f32_e32 v14, v23, v14
	;; [unrolled: 1-line block ×3, first 2 shown]
	s_barrier
	ds_write2_b64 v19, v[17:18], v[15:16] offset1:2
	ds_write2_b64 v19, v[11:12], v[9:10] offset0:4 offset1:6
	v_and_or_b32 v9, v31, s0, v29
	v_fma_f32 v22, v22, 2.0, -v13
	v_fma_f32 v23, v23, 2.0, -v14
	;; [unrolled: 1-line block ×4, first 2 shown]
	v_lshl_add_u32 v9, v9, 3, v28
	ds_write2_b64 v9, v[22:23], v[26:27] offset1:2
	ds_write2_b64 v9, v[13:14], v[24:25] offset0:4 offset1:6
	v_mul_u32_u24_e32 v9, 3, v0
	v_lshlrev_b32_e32 v13, 3, v9
	s_waitcnt lgkmcnt(0)
	s_barrier
	global_load_dwordx4 v[9:12], v13, s[6:7] offset:48
	global_load_dwordx2 v[17:18], v13, s[6:7] offset:64
	ds_read2_b64 v[13:16], v4 offset0:128 offset1:160
	s_movk_i32 s0, 0x60
	s_waitcnt vmcnt(1) lgkmcnt(0)
	v_mul_f32_e32 v19, v12, v14
	v_mul_f32_e32 v23, v12, v13
	;; [unrolled: 1-line block ×4, first 2 shown]
	v_fma_f32 v19, v11, v13, -v19
	ds_read_b64 v[12:13], v5
	v_fmac_f32_e32 v23, v11, v14
	v_fma_f32 v25, v11, v15, -v21
	ds_read_b64 v[14:15], v7
	ds_read_b64 v[21:22], v6
	v_fmac_f32_e32 v24, v11, v16
	s_waitcnt lgkmcnt(2)
	v_mul_f32_e32 v11, v10, v13
	v_mul_f32_e32 v16, v10, v12
	v_fma_f32 v26, v9, v12, -v11
	s_waitcnt lgkmcnt(0)
	v_mul_f32_e32 v11, v10, v22
	v_mul_f32_e32 v27, v10, v21
	v_fmac_f32_e32 v16, v9, v13
	v_fma_f32 v21, v9, v21, -v11
	v_fmac_f32_e32 v27, v9, v22
	ds_read2_b64 v[9:12], v4 offset0:192 offset1:224
	v_sub_f32_e32 v25, v14, v25
	v_sub_f32_e32 v32, v15, v24
	v_fma_f32 v24, v14, 2.0, -v25
	v_fma_f32 v15, v15, 2.0, -v32
	s_waitcnt vmcnt(0) lgkmcnt(0)
	v_mul_f32_e32 v13, v18, v10
	v_mul_f32_e32 v22, v18, v9
	v_fma_f32 v13, v17, v9, -v13
	v_mul_f32_e32 v9, v18, v12
	v_fmac_f32_e32 v22, v17, v10
	v_fma_f32 v29, v17, v11, -v9
	ds_read_b64 v[9:10], v8
	v_mul_f32_e32 v18, v18, v11
	v_fmac_f32_e32 v18, v17, v12
	v_sub_f32_e32 v12, v16, v22
	v_sub_f32_e32 v11, v26, v13
	s_waitcnt lgkmcnt(0)
	v_sub_f32_e32 v17, v9, v19
	v_sub_f32_e32 v19, v10, v23
	v_fma_f32 v23, v10, 2.0, -v19
	v_fma_f32 v16, v16, 2.0, -v12
	;; [unrolled: 1-line block ×4, first 2 shown]
	v_sub_f32_e32 v9, v17, v12
	v_sub_f32_e32 v12, v23, v16
	v_add_f32_e32 v10, v19, v11
	v_sub_f32_e32 v11, v22, v13
	v_fma_f32 v13, v17, 2.0, -v9
	v_fma_f32 v17, v23, 2.0, -v12
	v_sub_f32_e32 v23, v27, v18
	v_fma_f32 v14, v19, 2.0, -v10
	v_sub_f32_e32 v26, v21, v29
	v_fma_f32 v19, v27, 2.0, -v23
	v_fma_f32 v18, v21, 2.0, -v26
	v_sub_f32_e32 v19, v15, v19
	v_fma_f32 v16, v22, 2.0, -v11
	v_sub_f32_e32 v18, v24, v18
	v_fma_f32 v22, v15, 2.0, -v19
	v_and_or_b32 v15, v30, s0, v0
	s_movk_i32 s0, 0xe0
	v_fma_f32 v21, v24, 2.0, -v18
	v_sub_f32_e32 v23, v25, v23
	v_add_f32_e32 v24, v32, v26
	v_and_or_b32 v0, v31, s0, v0
	v_fma_f32 v25, v25, 2.0, -v23
	v_fma_f32 v26, v32, 2.0, -v24
	v_lshl_add_u32 v15, v15, 3, v28
	v_lshl_add_u32 v0, v0, 3, v28
	s_barrier
	ds_write2_b64 v15, v[16:17], v[13:14] offset1:8
	ds_write2_b64 v15, v[11:12], v[9:10] offset0:16 offset1:24
	ds_write2_b64 v0, v[21:22], v[25:26] offset1:8
	ds_write2_b64 v0, v[18:19], v[23:24] offset0:16 offset1:24
	s_waitcnt lgkmcnt(0)
	s_barrier
	s_and_saveexec_b64 s[0:1], vcc
	s_cbranch_execz .LBB0_10
; %bb.9:
	v_mul_u32_u24_e32 v0, 7, v20
	v_lshlrev_b32_e32 v0, 3, v0
	global_load_dwordx4 v[9:12], v0, s[6:7] offset:240
	global_load_dwordx4 v[13:16], v0, s[6:7] offset:256
	ds_read_b64 v[17:18], v7
	ds_read_b64 v[19:20], v6
	;; [unrolled: 1-line block ×4, first 2 shown]
	ds_read2_b64 v[5:8], v4 offset0:128 offset1:160
	s_waitcnt vmcnt(1) lgkmcnt(4)
	v_mul_f32_e32 v25, v10, v18
	v_mul_f32_e32 v18, v9, v18
	v_fma_f32 v25, v9, v17, -v25
	v_fmac_f32_e32 v18, v10, v17
	s_waitcnt lgkmcnt(2)
	v_mul_f32_e32 v9, v12, v22
	v_mul_f32_e32 v17, v11, v22
	v_fma_f32 v22, v11, v21, -v9
	v_fmac_f32_e32 v17, v12, v21
	global_load_dwordx4 v[9:12], v0, s[6:7] offset:272
	s_waitcnt vmcnt(1)
	v_mul_f32_e32 v21, v13, v20
	v_mul_f32_e32 v20, v14, v20
	v_fmac_f32_e32 v21, v14, v19
	v_fma_f32 v19, v13, v19, -v20
	global_load_dwordx2 v[13:14], v0, s[6:7] offset:288
	s_waitcnt lgkmcnt(0)
	v_mul_f32_e32 v20, v15, v6
	v_mul_f32_e32 v6, v16, v6
	v_fmac_f32_e32 v20, v16, v5
	v_fma_f32 v15, v15, v5, -v6
	s_waitcnt vmcnt(1)
	v_mul_f32_e32 v0, v10, v8
	v_mul_f32_e32 v8, v9, v8
	v_fma_f32 v0, v9, v7, -v0
	v_fmac_f32_e32 v8, v10, v7
	ds_read2_b64 v[4:7], v4 offset0:192 offset1:224
	v_sub_f32_e32 v0, v25, v0
	v_sub_f32_e32 v8, v18, v8
	;; [unrolled: 1-line block ×3, first 2 shown]
	v_fma_f32 v18, v18, 2.0, -v8
	s_waitcnt vmcnt(0) lgkmcnt(0)
	v_mul_f32_e32 v9, v13, v7
	v_mul_f32_e32 v7, v14, v7
	v_fmac_f32_e32 v9, v14, v6
	v_fma_f32 v6, v6, v13, -v7
	v_mul_f32_e32 v7, v12, v5
	v_mul_f32_e32 v5, v11, v5
	v_fma_f32 v7, v11, v4, -v7
	v_fmac_f32_e32 v5, v12, v4
	v_sub_f32_e32 v4, v22, v7
	v_sub_f32_e32 v7, v24, v20
	;; [unrolled: 1-line block ×5, first 2 shown]
	v_add_f32_e32 v13, v4, v7
	v_sub_f32_e32 v11, v0, v9
	v_add_f32_e32 v12, v8, v6
	v_sub_f32_e32 v15, v10, v5
	v_fma_f32 v14, v24, 2.0, -v7
	v_fma_f32 v16, v17, 2.0, -v5
	;; [unrolled: 1-line block ×8, first 2 shown]
	v_mov_b32_e32 v6, v13
	v_sub_f32_e32 v21, v24, v17
	v_sub_f32_e32 v4, v19, v4
	;; [unrolled: 1-line block ×3, first 2 shown]
	v_fma_f32 v22, v8, 2.0, -v12
	v_fma_f32 v23, v10, 2.0, -v15
	v_mov_b32_e32 v10, v20
	v_mov_b32_e32 v5, v15
	v_sub_f32_e32 v16, v14, v16
	v_fma_f32 v0, v0, 2.0, -v11
	v_fmac_f32_e32 v6, 0x3f3504f3, v12
	v_sub_f32_e32 v7, v4, v17
	v_mov_b32_e32 v9, v23
	v_fmac_f32_e32 v10, 0xbf3504f3, v22
	v_fmac_f32_e32 v5, 0x3f3504f3, v11
	v_add_f32_e32 v8, v16, v21
	v_fmac_f32_e32 v6, 0x3f3504f3, v11
	v_fma_f32 v11, v4, 2.0, -v7
	v_fmac_f32_e32 v9, 0xbf3504f3, v0
	v_fmac_f32_e32 v10, 0x3f3504f3, v0
	v_fma_f32 v0, v19, 2.0, -v4
	v_fma_f32 v4, v24, 2.0, -v21
	;; [unrolled: 1-line block ×3, first 2 shown]
	v_fmac_f32_e32 v5, 0xbf3504f3, v12
	v_fma_f32 v12, v16, 2.0, -v8
	v_fma_f32 v16, v13, 2.0, -v6
	v_sub_f32_e32 v13, v0, v4
	v_fma_f32 v19, v0, 2.0, -v13
	v_mov_b32_e32 v4, 0
	v_mov_b32_e32 v0, s3
	v_add_co_u32_e32 v21, vcc, s2, v1
	v_addc_co_u32_e32 v2, vcc, v0, v2, vcc
	v_lshlrev_b64 v[0:1], 3, v[3:4]
	v_fma_f32 v14, v18, 2.0, -v17
	v_sub_f32_e32 v14, v25, v14
	v_add_co_u32_e32 v0, vcc, v21, v0
	v_fmac_f32_e32 v9, 0xbf3504f3, v22
	v_fma_f32 v18, v20, 2.0, -v10
	v_fma_f32 v20, v25, 2.0, -v14
	v_addc_co_u32_e32 v1, vcc, v2, v1, vcc
	v_fma_f32 v15, v15, 2.0, -v5
	v_fma_f32 v17, v23, 2.0, -v9
	global_store_dwordx2 v[0:1], v[19:20], off
	global_store_dwordx2 v[0:1], v[17:18], off offset:256
	global_store_dwordx2 v[0:1], v[11:12], off offset:512
	;; [unrolled: 1-line block ×7, first 2 shown]
.LBB0_10:
	s_endpgm
	.section	.rodata,"a",@progbits
	.p2align	6, 0x0
	.amdhsa_kernel fft_rtc_fwd_len256_factors_2_4_4_8_wgs_128_tpt_32_dim3_sp_ip_CI_unitstride_sbrr_dirReg
		.amdhsa_group_segment_fixed_size 0
		.amdhsa_private_segment_fixed_size 0
		.amdhsa_kernarg_size 80
		.amdhsa_user_sgpr_count 6
		.amdhsa_user_sgpr_private_segment_buffer 1
		.amdhsa_user_sgpr_dispatch_ptr 0
		.amdhsa_user_sgpr_queue_ptr 0
		.amdhsa_user_sgpr_kernarg_segment_ptr 1
		.amdhsa_user_sgpr_dispatch_id 0
		.amdhsa_user_sgpr_flat_scratch_init 0
		.amdhsa_user_sgpr_private_segment_size 0
		.amdhsa_uses_dynamic_stack 0
		.amdhsa_system_sgpr_private_segment_wavefront_offset 0
		.amdhsa_system_sgpr_workgroup_id_x 1
		.amdhsa_system_sgpr_workgroup_id_y 0
		.amdhsa_system_sgpr_workgroup_id_z 0
		.amdhsa_system_sgpr_workgroup_info 0
		.amdhsa_system_vgpr_workitem_id 0
		.amdhsa_next_free_vgpr 34
		.amdhsa_next_free_sgpr 13
		.amdhsa_reserve_vcc 1
		.amdhsa_reserve_flat_scratch 0
		.amdhsa_float_round_mode_32 0
		.amdhsa_float_round_mode_16_64 0
		.amdhsa_float_denorm_mode_32 3
		.amdhsa_float_denorm_mode_16_64 3
		.amdhsa_dx10_clamp 1
		.amdhsa_ieee_mode 1
		.amdhsa_fp16_overflow 0
		.amdhsa_exception_fp_ieee_invalid_op 0
		.amdhsa_exception_fp_denorm_src 0
		.amdhsa_exception_fp_ieee_div_zero 0
		.amdhsa_exception_fp_ieee_overflow 0
		.amdhsa_exception_fp_ieee_underflow 0
		.amdhsa_exception_fp_ieee_inexact 0
		.amdhsa_exception_int_div_zero 0
	.end_amdhsa_kernel
	.text
.Lfunc_end0:
	.size	fft_rtc_fwd_len256_factors_2_4_4_8_wgs_128_tpt_32_dim3_sp_ip_CI_unitstride_sbrr_dirReg, .Lfunc_end0-fft_rtc_fwd_len256_factors_2_4_4_8_wgs_128_tpt_32_dim3_sp_ip_CI_unitstride_sbrr_dirReg
                                        ; -- End function
	.section	.AMDGPU.csdata,"",@progbits
; Kernel info:
; codeLenInByte = 2656
; NumSgprs: 17
; NumVgprs: 34
; ScratchSize: 0
; MemoryBound: 0
; FloatMode: 240
; IeeeMode: 1
; LDSByteSize: 0 bytes/workgroup (compile time only)
; SGPRBlocks: 2
; VGPRBlocks: 8
; NumSGPRsForWavesPerEU: 17
; NumVGPRsForWavesPerEU: 34
; Occupancy: 7
; WaveLimiterHint : 1
; COMPUTE_PGM_RSRC2:SCRATCH_EN: 0
; COMPUTE_PGM_RSRC2:USER_SGPR: 6
; COMPUTE_PGM_RSRC2:TRAP_HANDLER: 0
; COMPUTE_PGM_RSRC2:TGID_X_EN: 1
; COMPUTE_PGM_RSRC2:TGID_Y_EN: 0
; COMPUTE_PGM_RSRC2:TGID_Z_EN: 0
; COMPUTE_PGM_RSRC2:TIDIG_COMP_CNT: 0
	.type	__hip_cuid_1ef8c61888599d26,@object ; @__hip_cuid_1ef8c61888599d26
	.section	.bss,"aw",@nobits
	.globl	__hip_cuid_1ef8c61888599d26
__hip_cuid_1ef8c61888599d26:
	.byte	0                               ; 0x0
	.size	__hip_cuid_1ef8c61888599d26, 1

	.ident	"AMD clang version 19.0.0git (https://github.com/RadeonOpenCompute/llvm-project roc-6.4.0 25133 c7fe45cf4b819c5991fe208aaa96edf142730f1d)"
	.section	".note.GNU-stack","",@progbits
	.addrsig
	.addrsig_sym __hip_cuid_1ef8c61888599d26
	.amdgpu_metadata
---
amdhsa.kernels:
  - .args:
      - .actual_access:  read_only
        .address_space:  global
        .offset:         0
        .size:           8
        .value_kind:     global_buffer
      - .actual_access:  read_only
        .address_space:  global
        .offset:         8
        .size:           8
        .value_kind:     global_buffer
      - .actual_access:  read_only
        .address_space:  global
        .offset:         16
        .size:           8
        .value_kind:     global_buffer
      - .offset:         24
        .size:           8
        .value_kind:     by_value
      - .actual_access:  read_only
        .address_space:  global
        .offset:         32
        .size:           8
        .value_kind:     global_buffer
      - .actual_access:  read_only
        .address_space:  global
        .offset:         40
        .size:           8
        .value_kind:     global_buffer
      - .offset:         48
        .size:           4
        .value_kind:     by_value
      - .actual_access:  read_only
        .address_space:  global
        .offset:         56
        .size:           8
        .value_kind:     global_buffer
      - .actual_access:  read_only
        .address_space:  global
        .offset:         64
        .size:           8
        .value_kind:     global_buffer
      - .address_space:  global
        .offset:         72
        .size:           8
        .value_kind:     global_buffer
    .group_segment_fixed_size: 0
    .kernarg_segment_align: 8
    .kernarg_segment_size: 80
    .language:       OpenCL C
    .language_version:
      - 2
      - 0
    .max_flat_workgroup_size: 128
    .name:           fft_rtc_fwd_len256_factors_2_4_4_8_wgs_128_tpt_32_dim3_sp_ip_CI_unitstride_sbrr_dirReg
    .private_segment_fixed_size: 0
    .sgpr_count:     17
    .sgpr_spill_count: 0
    .symbol:         fft_rtc_fwd_len256_factors_2_4_4_8_wgs_128_tpt_32_dim3_sp_ip_CI_unitstride_sbrr_dirReg.kd
    .uniform_work_group_size: 1
    .uses_dynamic_stack: false
    .vgpr_count:     34
    .vgpr_spill_count: 0
    .wavefront_size: 64
amdhsa.target:   amdgcn-amd-amdhsa--gfx906
amdhsa.version:
  - 1
  - 2
...

	.end_amdgpu_metadata
